;; amdgpu-corpus repo=ROCm/rocFFT kind=compiled arch=gfx906 opt=O3
	.text
	.amdgcn_target "amdgcn-amd-amdhsa--gfx906"
	.amdhsa_code_object_version 6
	.protected	fft_rtc_back_len352_factors_11_2_16_wgs_64_tpt_32_sp_ip_CI_unitstride_sbrr_R2C_dirReg ; -- Begin function fft_rtc_back_len352_factors_11_2_16_wgs_64_tpt_32_sp_ip_CI_unitstride_sbrr_R2C_dirReg
	.globl	fft_rtc_back_len352_factors_11_2_16_wgs_64_tpt_32_sp_ip_CI_unitstride_sbrr_R2C_dirReg
	.p2align	8
	.type	fft_rtc_back_len352_factors_11_2_16_wgs_64_tpt_32_sp_ip_CI_unitstride_sbrr_R2C_dirReg,@function
fft_rtc_back_len352_factors_11_2_16_wgs_64_tpt_32_sp_ip_CI_unitstride_sbrr_R2C_dirReg: ; @fft_rtc_back_len352_factors_11_2_16_wgs_64_tpt_32_sp_ip_CI_unitstride_sbrr_R2C_dirReg
; %bb.0:
	s_load_dwordx2 s[12:13], s[4:5], 0x50
	s_load_dwordx4 s[8:11], s[4:5], 0x0
	s_load_dwordx2 s[2:3], s[4:5], 0x18
	v_lshrrev_b32_e32 v1, 5, v0
	v_lshl_or_b32 v5, s6, 1, v1
	v_mov_b32_e32 v3, 0
	s_waitcnt lgkmcnt(0)
	v_cmp_lt_u64_e64 s[0:1], s[10:11], 2
	v_mov_b32_e32 v1, 0
	v_mov_b32_e32 v6, v3
	s_and_b64 vcc, exec, s[0:1]
	v_mov_b32_e32 v2, 0
	s_cbranch_vccnz .LBB0_8
; %bb.1:
	s_load_dwordx2 s[0:1], s[4:5], 0x10
	s_add_u32 s6, s2, 8
	s_addc_u32 s7, s3, 0
	v_mov_b32_e32 v1, 0
	v_mov_b32_e32 v2, 0
	s_waitcnt lgkmcnt(0)
	s_add_u32 s14, s0, 8
	s_addc_u32 s15, s1, 0
	s_mov_b64 s[16:17], 1
.LBB0_2:                                ; =>This Inner Loop Header: Depth=1
	s_load_dwordx2 s[18:19], s[14:15], 0x0
                                        ; implicit-def: $vgpr7_vgpr8
	s_waitcnt lgkmcnt(0)
	v_or_b32_e32 v4, s19, v6
	v_cmp_ne_u64_e32 vcc, 0, v[3:4]
	s_and_saveexec_b64 s[0:1], vcc
	s_xor_b64 s[20:21], exec, s[0:1]
	s_cbranch_execz .LBB0_4
; %bb.3:                                ;   in Loop: Header=BB0_2 Depth=1
	v_cvt_f32_u32_e32 v4, s18
	v_cvt_f32_u32_e32 v7, s19
	s_sub_u32 s0, 0, s18
	s_subb_u32 s1, 0, s19
	v_mac_f32_e32 v4, 0x4f800000, v7
	v_rcp_f32_e32 v4, v4
	v_mul_f32_e32 v4, 0x5f7ffffc, v4
	v_mul_f32_e32 v7, 0x2f800000, v4
	v_trunc_f32_e32 v7, v7
	v_mac_f32_e32 v4, 0xcf800000, v7
	v_cvt_u32_f32_e32 v7, v7
	v_cvt_u32_f32_e32 v4, v4
	v_mul_lo_u32 v8, s0, v7
	v_mul_hi_u32 v9, s0, v4
	v_mul_lo_u32 v11, s1, v4
	v_mul_lo_u32 v10, s0, v4
	v_add_u32_e32 v8, v9, v8
	v_add_u32_e32 v8, v8, v11
	v_mul_hi_u32 v9, v4, v10
	v_mul_lo_u32 v11, v4, v8
	v_mul_hi_u32 v13, v4, v8
	v_mul_hi_u32 v12, v7, v10
	v_mul_lo_u32 v10, v7, v10
	v_mul_hi_u32 v14, v7, v8
	v_add_co_u32_e32 v9, vcc, v9, v11
	v_addc_co_u32_e32 v11, vcc, 0, v13, vcc
	v_mul_lo_u32 v8, v7, v8
	v_add_co_u32_e32 v9, vcc, v9, v10
	v_addc_co_u32_e32 v9, vcc, v11, v12, vcc
	v_addc_co_u32_e32 v10, vcc, 0, v14, vcc
	v_add_co_u32_e32 v8, vcc, v9, v8
	v_addc_co_u32_e32 v9, vcc, 0, v10, vcc
	v_add_co_u32_e32 v4, vcc, v4, v8
	v_addc_co_u32_e32 v7, vcc, v7, v9, vcc
	v_mul_lo_u32 v8, s0, v7
	v_mul_hi_u32 v9, s0, v4
	v_mul_lo_u32 v10, s1, v4
	v_mul_lo_u32 v11, s0, v4
	v_add_u32_e32 v8, v9, v8
	v_add_u32_e32 v8, v8, v10
	v_mul_lo_u32 v12, v4, v8
	v_mul_hi_u32 v13, v4, v11
	v_mul_hi_u32 v14, v4, v8
	;; [unrolled: 1-line block ×3, first 2 shown]
	v_mul_lo_u32 v11, v7, v11
	v_mul_hi_u32 v9, v7, v8
	v_add_co_u32_e32 v12, vcc, v13, v12
	v_addc_co_u32_e32 v13, vcc, 0, v14, vcc
	v_mul_lo_u32 v8, v7, v8
	v_add_co_u32_e32 v11, vcc, v12, v11
	v_addc_co_u32_e32 v10, vcc, v13, v10, vcc
	v_addc_co_u32_e32 v9, vcc, 0, v9, vcc
	v_add_co_u32_e32 v8, vcc, v10, v8
	v_addc_co_u32_e32 v9, vcc, 0, v9, vcc
	v_add_co_u32_e32 v4, vcc, v4, v8
	v_addc_co_u32_e32 v9, vcc, v7, v9, vcc
	v_mad_u64_u32 v[7:8], s[0:1], v5, v9, 0
	v_mul_hi_u32 v10, v5, v4
	v_add_co_u32_e32 v11, vcc, v10, v7
	v_addc_co_u32_e32 v12, vcc, 0, v8, vcc
	v_mad_u64_u32 v[7:8], s[0:1], v6, v4, 0
	v_mad_u64_u32 v[9:10], s[0:1], v6, v9, 0
	v_add_co_u32_e32 v4, vcc, v11, v7
	v_addc_co_u32_e32 v4, vcc, v12, v8, vcc
	v_addc_co_u32_e32 v7, vcc, 0, v10, vcc
	v_add_co_u32_e32 v4, vcc, v4, v9
	v_addc_co_u32_e32 v9, vcc, 0, v7, vcc
	v_mul_lo_u32 v10, s19, v4
	v_mul_lo_u32 v11, s18, v9
	v_mad_u64_u32 v[7:8], s[0:1], s18, v4, 0
	v_add3_u32 v8, v8, v11, v10
	v_sub_u32_e32 v10, v6, v8
	v_mov_b32_e32 v11, s19
	v_sub_co_u32_e32 v7, vcc, v5, v7
	v_subb_co_u32_e64 v10, s[0:1], v10, v11, vcc
	v_subrev_co_u32_e64 v11, s[0:1], s18, v7
	v_subbrev_co_u32_e64 v10, s[0:1], 0, v10, s[0:1]
	v_cmp_le_u32_e64 s[0:1], s19, v10
	v_cndmask_b32_e64 v12, 0, -1, s[0:1]
	v_cmp_le_u32_e64 s[0:1], s18, v11
	v_cndmask_b32_e64 v11, 0, -1, s[0:1]
	v_cmp_eq_u32_e64 s[0:1], s19, v10
	v_cndmask_b32_e64 v10, v12, v11, s[0:1]
	v_add_co_u32_e64 v11, s[0:1], 2, v4
	v_addc_co_u32_e64 v12, s[0:1], 0, v9, s[0:1]
	v_add_co_u32_e64 v13, s[0:1], 1, v4
	v_addc_co_u32_e64 v14, s[0:1], 0, v9, s[0:1]
	v_subb_co_u32_e32 v8, vcc, v6, v8, vcc
	v_cmp_ne_u32_e64 s[0:1], 0, v10
	v_cmp_le_u32_e32 vcc, s19, v8
	v_cndmask_b32_e64 v10, v14, v12, s[0:1]
	v_cndmask_b32_e64 v12, 0, -1, vcc
	v_cmp_le_u32_e32 vcc, s18, v7
	v_cndmask_b32_e64 v7, 0, -1, vcc
	v_cmp_eq_u32_e32 vcc, s19, v8
	v_cndmask_b32_e32 v7, v12, v7, vcc
	v_cmp_ne_u32_e32 vcc, 0, v7
	v_cndmask_b32_e64 v7, v13, v11, s[0:1]
	v_cndmask_b32_e32 v8, v9, v10, vcc
	v_cndmask_b32_e32 v7, v4, v7, vcc
.LBB0_4:                                ;   in Loop: Header=BB0_2 Depth=1
	s_andn2_saveexec_b64 s[0:1], s[20:21]
	s_cbranch_execz .LBB0_6
; %bb.5:                                ;   in Loop: Header=BB0_2 Depth=1
	v_cvt_f32_u32_e32 v4, s18
	s_sub_i32 s20, 0, s18
	v_rcp_iflag_f32_e32 v4, v4
	v_mul_f32_e32 v4, 0x4f7ffffe, v4
	v_cvt_u32_f32_e32 v4, v4
	v_mul_lo_u32 v7, s20, v4
	v_mul_hi_u32 v7, v4, v7
	v_add_u32_e32 v4, v4, v7
	v_mul_hi_u32 v4, v5, v4
	v_mul_lo_u32 v7, v4, s18
	v_add_u32_e32 v8, 1, v4
	v_sub_u32_e32 v7, v5, v7
	v_subrev_u32_e32 v9, s18, v7
	v_cmp_le_u32_e32 vcc, s18, v7
	v_cndmask_b32_e32 v7, v7, v9, vcc
	v_cndmask_b32_e32 v4, v4, v8, vcc
	v_add_u32_e32 v8, 1, v4
	v_cmp_le_u32_e32 vcc, s18, v7
	v_cndmask_b32_e32 v7, v4, v8, vcc
	v_mov_b32_e32 v8, v3
.LBB0_6:                                ;   in Loop: Header=BB0_2 Depth=1
	s_or_b64 exec, exec, s[0:1]
	v_mul_lo_u32 v4, v8, s18
	v_mul_lo_u32 v11, v7, s19
	v_mad_u64_u32 v[9:10], s[0:1], v7, s18, 0
	s_load_dwordx2 s[0:1], s[6:7], 0x0
	s_add_u32 s16, s16, 1
	v_add3_u32 v4, v10, v11, v4
	v_sub_co_u32_e32 v5, vcc, v5, v9
	v_subb_co_u32_e32 v4, vcc, v6, v4, vcc
	s_waitcnt lgkmcnt(0)
	v_mul_lo_u32 v4, s0, v4
	v_mul_lo_u32 v6, s1, v5
	v_mad_u64_u32 v[1:2], s[0:1], s0, v5, v[1:2]
	s_addc_u32 s17, s17, 0
	s_add_u32 s6, s6, 8
	v_add3_u32 v2, v6, v2, v4
	v_mov_b32_e32 v4, s10
	v_mov_b32_e32 v5, s11
	s_addc_u32 s7, s7, 0
	v_cmp_ge_u64_e32 vcc, s[16:17], v[4:5]
	s_add_u32 s14, s14, 8
	s_addc_u32 s15, s15, 0
	s_cbranch_vccnz .LBB0_9
; %bb.7:                                ;   in Loop: Header=BB0_2 Depth=1
	v_mov_b32_e32 v5, v7
	v_mov_b32_e32 v6, v8
	s_branch .LBB0_2
.LBB0_8:
	v_mov_b32_e32 v8, v6
	v_mov_b32_e32 v7, v5
.LBB0_9:
	s_lshl_b64 s[0:1], s[10:11], 3
	s_add_u32 s0, s2, s0
	s_addc_u32 s1, s3, s1
	s_load_dwordx2 s[2:3], s[0:1], 0x0
	s_load_dwordx2 s[6:7], s[4:5], 0x20
	v_and_b32_e32 v6, 32, v0
	v_and_b32_e32 v41, 31, v0
	v_mov_b32_e32 v3, 0x161
	s_waitcnt lgkmcnt(0)
	v_mul_lo_u32 v4, s2, v8
	v_mul_lo_u32 v5, s3, v7
	v_mad_u64_u32 v[1:2], s[0:1], s2, v7, v[1:2]
	v_cmp_gt_u64_e32 vcc, s[6:7], v[7:8]
	v_cmp_le_u64_e64 s[2:3], s[6:7], v[7:8]
	v_cmp_ne_u32_e64 s[0:1], 0, v6
	v_add3_u32 v2, v5, v2, v4
	v_or_b32_e32 v30, 32, v41
	v_or_b32_e32 v34, 64, v41
                                        ; implicit-def: $vgpr36
                                        ; implicit-def: $vgpr33
                                        ; implicit-def: $vgpr32
	s_and_saveexec_b64 s[4:5], s[2:3]
	s_xor_b64 s[2:3], exec, s[4:5]
; %bb.10:
	v_or_b32_e32 v30, 32, v41
	v_or_b32_e32 v34, 64, v41
	;; [unrolled: 1-line block ×5, first 2 shown]
; %bb.11:
	s_or_saveexec_b64 s[2:3], s[2:3]
	v_cndmask_b32_e64 v0, 0, v3, s[0:1]
	v_lshlrev_b64 v[28:29], 3, v[1:2]
	v_lshlrev_b32_e32 v42, 3, v41
	v_lshlrev_b32_e32 v35, 3, v0
	s_xor_b64 exec, exec, s[2:3]
	s_cbranch_execz .LBB0_13
; %bb.12:
	v_mov_b32_e32 v0, s13
	v_add_co_u32_e64 v1, s[0:1], s12, v28
	v_addc_co_u32_e64 v2, s[0:1], v0, v29, s[0:1]
	v_add_co_u32_e64 v0, s[0:1], v1, v42
	v_addc_co_u32_e64 v1, s[0:1], 0, v2, s[0:1]
	global_load_dwordx2 v[2:3], v[0:1], off
	global_load_dwordx2 v[4:5], v[0:1], off offset:256
	global_load_dwordx2 v[6:7], v[0:1], off offset:512
	;; [unrolled: 1-line block ×10, first 2 shown]
	v_add3_u32 v0, 0, v35, v42
	v_or_b32_e32 v36, 0x60, v41
	v_or_b32_e32 v33, 0x80, v41
	;; [unrolled: 1-line block ×3, first 2 shown]
	v_add_u32_e32 v1, 0x800, v0
	s_waitcnt vmcnt(9)
	ds_write2_b64 v0, v[2:3], v[4:5] offset1:32
	s_waitcnt vmcnt(7)
	ds_write2_b64 v0, v[6:7], v[8:9] offset0:64 offset1:96
	s_waitcnt vmcnt(5)
	ds_write2_b64 v0, v[10:11], v[12:13] offset0:128 offset1:160
	;; [unrolled: 2-line block ×3, first 2 shown]
	s_waitcnt vmcnt(1)
	ds_write2_b64 v1, v[18:19], v[20:21] offset1:32
	s_waitcnt vmcnt(0)
	ds_write_b64 v0, v[22:23] offset:2560
.LBB0_13:
	s_or_b64 exec, exec, s[2:3]
	v_add_u32_e32 v44, 0, v35
	v_add_u32_e32 v43, v44, v42
	s_waitcnt lgkmcnt(0)
	; wave barrier
	s_waitcnt lgkmcnt(0)
	ds_read_b64 v[23:24], v43
	v_add3_u32 v31, 0, v42, v35
	ds_read2_b64 v[7:10], v31 offset0:32 offset1:64
	ds_read2_b64 v[11:14], v31 offset0:96 offset1:128
	;; [unrolled: 1-line block ×3, first 2 shown]
	v_add_u32_e32 v4, 0x800, v31
	v_add_u32_e32 v6, 0x400, v31
	ds_read2_b64 v[19:22], v4 offset0:32 offset1:64
	s_waitcnt lgkmcnt(3)
	v_add_f32_e32 v4, v23, v7
	ds_read2_b64 v[15:18], v6 offset0:96 offset1:128
	v_add_f32_e32 v5, v24, v8
	v_add_f32_e32 v4, v4, v9
	v_add_f32_e32 v5, v5, v10
	s_waitcnt lgkmcnt(3)
	v_add_f32_e32 v4, v4, v11
	v_add_f32_e32 v5, v5, v12
	v_add_f32_e32 v4, v4, v13
	v_add_f32_e32 v5, v5, v14
	s_waitcnt lgkmcnt(2)
	v_add_f32_e32 v4, v4, v0
	;; [unrolled: 5-line block ×3, first 2 shown]
	v_add_f32_e32 v5, v5, v16
	v_add_f32_e32 v4, v4, v17
	;; [unrolled: 1-line block ×5, first 2 shown]
	v_sub_f32_e32 v8, v8, v22
	v_mul_f32_e32 v27, 0x3f575c64, v26
	v_mul_f32_e32 v40, 0x3ed4b147, v26
	;; [unrolled: 1-line block ×5, first 2 shown]
	v_add_f32_e32 v5, v5, v20
	v_add_f32_e32 v4, v4, v21
	;; [unrolled: 1-line block ×3, first 2 shown]
	v_sub_f32_e32 v7, v7, v21
	v_mul_f32_e32 v21, 0xbf0a6770, v8
	v_mov_b32_e32 v37, v27
	v_mul_f32_e32 v38, 0xbf68dda4, v8
	v_mov_b32_e32 v45, v40
	;; [unrolled: 2-line block ×5, first 2 shown]
	v_add_f32_e32 v5, v5, v22
	s_mov_b32 s2, 0x3f575c64
	v_mov_b32_e32 v22, v21
	v_fmac_f32_e32 v37, 0x3f0a6770, v7
	v_fmac_f32_e32 v27, 0xbf0a6770, v7
	s_mov_b32 s0, 0x3ed4b147
	v_mov_b32_e32 v39, v38
	v_fmac_f32_e32 v45, 0x3f68dda4, v7
	v_fmac_f32_e32 v40, 0xbf68dda4, v7
	;; [unrolled: 4-line block ×5, first 2 shown]
	v_fmac_f32_e32 v22, 0x3f575c64, v25
	v_add_f32_e32 v37, v24, v37
	v_fma_f32 v21, v25, s2, -v21
	v_add_f32_e32 v27, v24, v27
	v_fmac_f32_e32 v39, 0x3ed4b147, v25
	v_add_f32_e32 v45, v24, v45
	v_fma_f32 v38, v25, s0, -v38
	v_add_f32_e32 v40, v24, v40
	;; [unrolled: 4-line block ×5, first 2 shown]
	v_add_f32_e32 v24, v20, v10
	v_sub_f32_e32 v10, v10, v20
	v_add_f32_e32 v22, v23, v22
	v_add_f32_e32 v21, v23, v21
	;; [unrolled: 1-line block ×11, first 2 shown]
	v_sub_f32_e32 v9, v9, v19
	v_mul_f32_e32 v19, 0xbf68dda4, v10
	v_mov_b32_e32 v20, v19
	v_fmac_f32_e32 v20, 0x3ed4b147, v23
	v_add_f32_e32 v20, v20, v22
	v_mul_f32_e32 v22, 0x3ed4b147, v24
	v_mov_b32_e32 v25, v22
	v_fma_f32 v19, v23, s0, -v19
	v_fmac_f32_e32 v22, 0xbf68dda4, v9
	v_add_f32_e32 v19, v19, v21
	v_add_f32_e32 v21, v22, v27
	v_mul_f32_e32 v22, 0xbf4178ce, v10
	v_mov_b32_e32 v26, v22
	v_fma_f32 v22, v23, s3, -v22
	v_fmac_f32_e32 v25, 0x3f68dda4, v9
	v_fmac_f32_e32 v26, 0xbf27a4f4, v23
	v_mul_f32_e32 v27, 0xbf27a4f4, v24
	v_add_f32_e32 v22, v22, v38
	v_mul_f32_e32 v38, 0x3e903f40, v10
	v_add_f32_e32 v25, v25, v37
	v_add_f32_e32 v26, v26, v39
	v_mov_b32_e32 v37, v27
	v_fmac_f32_e32 v27, 0xbf4178ce, v9
	v_mov_b32_e32 v39, v38
	v_fma_f32 v38, v23, s4, -v38
	v_fmac_f32_e32 v37, 0x3f4178ce, v9
	v_add_f32_e32 v27, v27, v40
	v_fmac_f32_e32 v39, 0xbf75a155, v23
	v_mul_f32_e32 v40, 0xbf75a155, v24
	v_add_f32_e32 v38, v38, v46
	v_mul_f32_e32 v46, 0x3f7d64f0, v10
	v_add_f32_e32 v37, v37, v45
	v_add_f32_e32 v39, v39, v47
	v_mov_b32_e32 v45, v40
	v_fmac_f32_e32 v40, 0x3e903f40, v9
	v_mov_b32_e32 v47, v46
	v_fma_f32 v46, v23, s1, -v46
	v_mul_f32_e32 v10, 0x3f0a6770, v10
	v_fmac_f32_e32 v45, 0xbe903f40, v9
	v_add_f32_e32 v40, v40, v48
	v_fmac_f32_e32 v47, 0xbe11bafb, v23
	v_mul_f32_e32 v48, 0xbe11bafb, v24
	v_add_f32_e32 v46, v46, v50
	v_mov_b32_e32 v50, v10
	v_mul_f32_e32 v24, 0x3f575c64, v24
	v_fma_f32 v10, v23, s2, -v10
	v_add_f32_e32 v45, v45, v49
	v_add_f32_e32 v47, v47, v51
	v_mov_b32_e32 v49, v48
	v_mov_b32_e32 v51, v24
	v_add_f32_e32 v8, v10, v8
	v_add_f32_e32 v10, v18, v12
	v_sub_f32_e32 v12, v12, v18
	v_fmac_f32_e32 v49, 0xbf7d64f0, v9
	v_fmac_f32_e32 v48, 0x3f7d64f0, v9
	v_fmac_f32_e32 v51, 0xbf0a6770, v9
	v_fmac_f32_e32 v24, 0x3f0a6770, v9
	v_add_f32_e32 v9, v17, v11
	v_sub_f32_e32 v11, v11, v17
	v_mul_f32_e32 v17, 0xbf7d64f0, v12
	v_mov_b32_e32 v18, v17
	v_fmac_f32_e32 v18, 0xbe11bafb, v9
	v_add_f32_e32 v18, v18, v20
	v_mul_f32_e32 v20, 0xbe11bafb, v10
	v_fmac_f32_e32 v50, 0x3f575c64, v23
	v_mov_b32_e32 v23, v20
	v_fma_f32 v17, v9, s1, -v17
	v_fmac_f32_e32 v20, 0xbf7d64f0, v11
	v_add_f32_e32 v7, v24, v7
	v_fmac_f32_e32 v23, 0x3f7d64f0, v11
	v_add_f32_e32 v17, v17, v19
	v_add_f32_e32 v19, v20, v21
	v_mul_f32_e32 v20, 0x3e903f40, v12
	v_mul_f32_e32 v24, 0xbf75a155, v10
	v_add_f32_e32 v23, v23, v25
	v_mov_b32_e32 v21, v20
	v_mov_b32_e32 v25, v24
	v_fma_f32 v20, v9, s4, -v20
	v_fmac_f32_e32 v24, 0x3e903f40, v11
	v_fmac_f32_e32 v21, 0xbf75a155, v9
	v_add_f32_e32 v20, v20, v22
	v_add_f32_e32 v22, v24, v27
	v_mul_f32_e32 v24, 0x3f68dda4, v12
	v_add_f32_e32 v21, v21, v26
	v_mov_b32_e32 v26, v24
	v_fma_f32 v24, v9, s0, -v24
	v_fmac_f32_e32 v25, 0xbe903f40, v11
	v_fmac_f32_e32 v26, 0x3ed4b147, v9
	v_mul_f32_e32 v27, 0x3ed4b147, v10
	v_add_f32_e32 v24, v24, v38
	v_mul_f32_e32 v38, 0xbf0a6770, v12
	v_add_f32_e32 v25, v25, v37
	v_add_f32_e32 v26, v26, v39
	v_mov_b32_e32 v37, v27
	v_fmac_f32_e32 v27, 0x3f68dda4, v11
	v_mov_b32_e32 v39, v38
	v_fma_f32 v38, v9, s2, -v38
	v_mul_f32_e32 v12, 0xbf4178ce, v12
	v_fmac_f32_e32 v37, 0xbf68dda4, v11
	v_add_f32_e32 v27, v27, v40
	v_fmac_f32_e32 v39, 0x3f575c64, v9
	v_mul_f32_e32 v40, 0x3f575c64, v10
	v_add_f32_e32 v38, v38, v46
	v_mov_b32_e32 v46, v12
	v_mul_f32_e32 v10, 0xbf27a4f4, v10
	v_add_f32_e32 v37, v37, v45
	v_add_f32_e32 v39, v39, v47
	v_mov_b32_e32 v45, v40
	v_fmac_f32_e32 v46, 0xbf27a4f4, v9
	v_mov_b32_e32 v47, v10
	v_fma_f32 v9, v9, s3, -v12
	v_sub_f32_e32 v12, v14, v16
	v_fmac_f32_e32 v45, 0x3f0a6770, v11
	v_fmac_f32_e32 v40, 0xbf0a6770, v11
	;; [unrolled: 1-line block ×3, first 2 shown]
	v_add_f32_e32 v8, v9, v8
	v_fmac_f32_e32 v10, 0xbf4178ce, v11
	v_add_f32_e32 v9, v15, v13
	v_sub_f32_e32 v11, v13, v15
	v_mul_f32_e32 v13, 0xbf4178ce, v12
	v_add_f32_e32 v7, v10, v7
	v_add_f32_e32 v10, v16, v14
	v_mov_b32_e32 v14, v13
	v_fma_f32 v13, v9, s3, -v13
	v_fmac_f32_e32 v14, 0xbf27a4f4, v9
	v_add_f32_e32 v13, v13, v17
	v_mul_f32_e32 v17, 0x3f7d64f0, v12
	v_add_f32_e32 v14, v14, v18
	v_mov_b32_e32 v18, v17
	v_mul_f32_e32 v15, 0xbf27a4f4, v10
	v_fmac_f32_e32 v18, 0xbe11bafb, v9
	v_mov_b32_e32 v16, v15
	v_fmac_f32_e32 v15, 0xbf4178ce, v11
	v_add_f32_e32 v21, v18, v21
	v_mul_f32_e32 v18, 0xbe11bafb, v10
	v_add_f32_e32 v15, v15, v19
	v_mov_b32_e32 v19, v18
	v_fma_f32 v17, v9, s1, -v17
	v_fmac_f32_e32 v18, 0x3f7d64f0, v11
	v_fmac_f32_e32 v16, 0x3f4178ce, v11
	;; [unrolled: 1-line block ×3, first 2 shown]
	v_add_f32_e32 v17, v17, v20
	v_add_f32_e32 v20, v18, v22
	v_mul_f32_e32 v18, 0xbf0a6770, v12
	v_add_f32_e32 v16, v16, v23
	v_add_f32_e32 v23, v19, v25
	v_mov_b32_e32 v19, v18
	v_fmac_f32_e32 v19, 0x3f575c64, v9
	v_add_f32_e32 v22, v19, v26
	v_mul_f32_e32 v19, 0x3f575c64, v10
	v_fma_f32 v18, v9, s2, -v18
	v_mov_b32_e32 v25, v19
	v_add_f32_e32 v24, v18, v24
	v_fmac_f32_e32 v19, 0xbf0a6770, v11
	v_mul_f32_e32 v18, 0xbe903f40, v12
	v_add_f32_e32 v26, v19, v27
	v_mov_b32_e32 v19, v18
	v_fmac_f32_e32 v19, 0xbf75a155, v9
	v_fma_f32 v18, v9, s4, -v18
	v_mul_f32_e32 v12, 0x3f68dda4, v12
	v_add_f32_e32 v49, v49, v53
	v_add_f32_e32 v48, v48, v52
	;; [unrolled: 1-line block ×3, first 2 shown]
	v_fmac_f32_e32 v25, 0x3f0a6770, v11
	v_add_f32_e32 v27, v19, v39
	v_mul_f32_e32 v19, 0xbf75a155, v10
	v_add_f32_e32 v38, v18, v38
	v_mov_b32_e32 v18, v12
	v_add_f32_e32 v51, v51, v55
	v_add_f32_e32 v45, v45, v49
	;; [unrolled: 1-line block ×5, first 2 shown]
	v_mov_b32_e32 v37, v19
	v_fmac_f32_e32 v19, 0xbe903f40, v11
	v_fmac_f32_e32 v18, 0x3ed4b147, v9
	v_mul_f32_e32 v10, 0x3ed4b147, v10
	v_add_f32_e32 v49, v3, v1
	v_add_f32_e32 v47, v47, v51
	;; [unrolled: 1-line block ×4, first 2 shown]
	v_mov_b32_e32 v18, v10
	v_fma_f32 v9, v9, s0, -v12
	v_sub_f32_e32 v50, v0, v2
	v_sub_f32_e32 v51, v1, v3
	v_mul_f32_e32 v3, 0xbf75a155, v49
	v_fmac_f32_e32 v37, 0x3e903f40, v11
	v_fmac_f32_e32 v18, 0xbf68dda4, v11
	v_add_f32_e32 v46, v9, v8
	v_fmac_f32_e32 v10, 0x3f68dda4, v11
	v_add_f32_e32 v48, v2, v0
	v_mul_f32_e32 v2, 0xbe903f40, v51
	v_mov_b32_e32 v1, v3
	v_fmac_f32_e32 v3, 0xbe903f40, v50
	v_mul_f32_e32 v8, 0x3f575c64, v49
	v_add_f32_e32 v37, v37, v45
	v_add_f32_e32 v45, v18, v47
	;; [unrolled: 1-line block ×3, first 2 shown]
	v_mov_b32_e32 v0, v2
	v_fma_f32 v2, v48, s4, -v2
	v_add_f32_e32 v19, v3, v15
	v_mul_f32_e32 v7, 0x3f0a6770, v51
	v_mov_b32_e32 v3, v8
	v_fmac_f32_e32 v1, 0x3e903f40, v50
	v_add_f32_e32 v18, v2, v13
	v_mov_b32_e32 v2, v7
	v_fmac_f32_e32 v3, 0xbf0a6770, v50
	v_fma_f32 v7, v48, s2, -v7
	v_fmac_f32_e32 v0, 0xbf75a155, v48
	v_add_f32_e32 v1, v1, v16
	v_fmac_f32_e32 v2, 0x3f575c64, v48
	v_add_f32_e32 v3, v3, v23
	v_add_f32_e32 v7, v7, v17
	v_fmac_f32_e32 v8, 0x3f0a6770, v50
	v_mul_f32_e32 v11, 0xbf4178ce, v51
	v_mul_f32_e32 v12, 0xbf27a4f4, v49
	;; [unrolled: 1-line block ×5, first 2 shown]
	v_add_f32_e32 v0, v0, v14
	v_add_f32_e32 v2, v2, v21
	;; [unrolled: 1-line block ×3, first 2 shown]
	v_mov_b32_e32 v9, v11
	v_mov_b32_e32 v10, v12
	v_mul_f32_e32 v15, 0x3f68dda4, v51
	v_mov_b32_e32 v14, v16
	v_mov_b32_e32 v20, v17
	;; [unrolled: 1-line block ×3, first 2 shown]
	v_fmac_f32_e32 v9, 0xbf27a4f4, v48
	v_fmac_f32_e32 v10, 0x3f4178ce, v50
	v_fma_f32 v11, v48, s3, -v11
	v_mov_b32_e32 v13, v15
	v_fmac_f32_e32 v14, 0xbf68dda4, v50
	v_fma_f32 v15, v48, s0, -v15
	v_fmac_f32_e32 v16, 0x3f68dda4, v50
	v_fmac_f32_e32 v20, 0xbe11bafb, v48
	v_fmac_f32_e32 v21, 0x3f7d64f0, v50
	v_fma_f32 v17, v48, s1, -v17
	v_fmac_f32_e32 v23, 0xbf7d64f0, v50
	s_movk_i32 s0, 0x50
	v_add_f32_e32 v9, v9, v22
	v_add_f32_e32 v10, v10, v25
	;; [unrolled: 1-line block ×3, first 2 shown]
	v_fmac_f32_e32 v12, 0xbf4178ce, v50
	v_fmac_f32_e32 v13, 0x3ed4b147, v48
	v_add_f32_e32 v14, v14, v37
	v_add_f32_e32 v15, v15, v38
	;; [unrolled: 1-line block ×7, first 2 shown]
	v_mad_u32_u24 v17, v41, s0, v31
	v_lshl_add_u32 v47, v34, 3, v44
	v_lshl_add_u32 v46, v36, 3, v44
	v_add_f32_e32 v12, v12, v26
	v_add_f32_e32 v13, v13, v27
	s_waitcnt lgkmcnt(0)
	; wave barrier
	ds_write2_b64 v17, v[4:5], v[0:1] offset1:1
	ds_write2_b64 v17, v[2:3], v[9:10] offset0:2 offset1:3
	ds_write2_b64 v17, v[13:14], v[20:21] offset0:4 offset1:5
	;; [unrolled: 1-line block ×4, first 2 shown]
	ds_write_b64 v17, v[18:19] offset:80
	s_waitcnt lgkmcnt(0)
	; wave barrier
	s_waitcnt lgkmcnt(0)
	ds_read_b64 v[8:9], v43
	ds_read2_b64 v[0:3], v31 offset0:176 offset1:208
	v_lshl_add_u32 v48, v30, 3, v44
	ds_read_b64 v[10:11], v47
	ds_read2_b64 v[4:7], v6 offset0:112 offset1:144
	v_lshl_add_u32 v45, v33, 3, v44
	ds_read_b64 v[16:17], v46
	ds_read_b64 v[20:21], v45
	ds_read_b64 v[14:15], v48
	ds_read_b64 v[22:23], v31 offset:2432
	v_cmp_gt_u32_e64 s[0:1], 16, v41
                                        ; implicit-def: $vgpr25
	s_and_saveexec_b64 s[2:3], s[0:1]
	s_cbranch_execz .LBB0_15
; %bb.14:
	v_lshlrev_b32_e32 v12, 3, v32
	v_add3_u32 v12, 0, v12, v35
	ds_read_b64 v[18:19], v12
	ds_read_b64 v[24:25], v31 offset:2688
.LBB0_15:
	s_or_b64 exec, exec, s[2:3]
	v_mul_lo_u16_e32 v12, 24, v41
	v_lshrrev_b16_e32 v57, 8, v12
	v_mul_lo_u16_e32 v12, 11, v57
	v_sub_u16_e32 v12, v41, v12
	v_mov_b32_e32 v37, 3
	s_movk_i32 s2, 0x75
	v_lshlrev_b32_sdwa v58, v37, v12 dst_sel:DWORD dst_unused:UNUSED_PAD src0_sel:DWORD src1_sel:BYTE_0
	v_mul_lo_u16_sdwa v12, v30, s2 dst_sel:DWORD dst_unused:UNUSED_PAD src0_sel:BYTE_0 src1_sel:DWORD
	v_sub_u16_sdwa v13, v30, v12 dst_sel:DWORD dst_unused:UNUSED_PAD src0_sel:DWORD src1_sel:BYTE_1
	v_lshrrev_b16_e32 v13, 1, v13
	v_and_b32_e32 v13, 0x7f, v13
	v_add_u16_sdwa v12, v13, v12 dst_sel:DWORD dst_unused:UNUSED_PAD src0_sel:DWORD src1_sel:BYTE_1
	v_lshrrev_b16_e32 v59, 3, v12
	v_mul_lo_u16_e32 v12, 11, v59
	v_sub_u16_e32 v12, v30, v12
	v_lshlrev_b32_sdwa v60, v37, v12 dst_sel:DWORD dst_unused:UNUSED_PAD src0_sel:DWORD src1_sel:BYTE_0
	v_mul_lo_u16_sdwa v12, v34, s2 dst_sel:DWORD dst_unused:UNUSED_PAD src0_sel:BYTE_0 src1_sel:DWORD
	v_mul_lo_u16_sdwa v13, v36, s2 dst_sel:DWORD dst_unused:UNUSED_PAD src0_sel:BYTE_0 src1_sel:DWORD
	;; [unrolled: 1-line block ×4, first 2 shown]
	v_sub_u16_sdwa v38, v34, v12 dst_sel:DWORD dst_unused:UNUSED_PAD src0_sel:DWORD src1_sel:BYTE_1
	v_sub_u16_sdwa v39, v36, v13 dst_sel:DWORD dst_unused:UNUSED_PAD src0_sel:DWORD src1_sel:BYTE_1
	;; [unrolled: 1-line block ×4, first 2 shown]
	v_lshrrev_b16_e32 v38, 1, v38
	v_lshrrev_b16_e32 v39, 1, v39
	;; [unrolled: 1-line block ×4, first 2 shown]
	v_and_b32_e32 v38, 0x7f, v38
	v_and_b32_e32 v39, 0x7f, v39
	;; [unrolled: 1-line block ×4, first 2 shown]
	v_add_u16_sdwa v12, v38, v12 dst_sel:DWORD dst_unused:UNUSED_PAD src0_sel:DWORD src1_sel:BYTE_1
	v_add_u16_sdwa v13, v39, v13 dst_sel:DWORD dst_unused:UNUSED_PAD src0_sel:DWORD src1_sel:BYTE_1
	v_add_u16_sdwa v26, v40, v26 dst_sel:DWORD dst_unused:UNUSED_PAD src0_sel:DWORD src1_sel:BYTE_1
	v_add_u16_sdwa v27, v49, v27 dst_sel:DWORD dst_unused:UNUSED_PAD src0_sel:DWORD src1_sel:BYTE_1
	v_lshrrev_b16_e32 v61, 3, v12
	v_lshrrev_b16_e32 v62, 3, v13
	;; [unrolled: 1-line block ×4, first 2 shown]
	v_mul_lo_u16_e32 v26, 11, v61
	global_load_dwordx2 v[12:13], v58, s[8:9]
	v_mul_lo_u16_e32 v27, 11, v62
	v_sub_u16_e32 v49, v34, v26
	v_sub_u16_e32 v51, v36, v27
	global_load_dwordx2 v[26:27], v60, s[8:9]
	v_lshlrev_b32_sdwa v64, v37, v49 dst_sel:DWORD dst_unused:UNUSED_PAD src0_sel:DWORD src1_sel:BYTE_0
	global_load_dwordx2 v[49:50], v64, s[8:9]
	v_lshlrev_b32_sdwa v65, v37, v51 dst_sel:DWORD dst_unused:UNUSED_PAD src0_sel:DWORD src1_sel:BYTE_0
	global_load_dwordx2 v[51:52], v65, s[8:9]
	v_mul_lo_u16_e32 v40, 11, v39
	v_sub_u16_e32 v40, v32, v40
	v_lshlrev_b32_sdwa v40, v37, v40 dst_sel:DWORD dst_unused:UNUSED_PAD src0_sel:DWORD src1_sel:BYTE_0
	v_mul_lo_u16_e32 v38, 11, v63
	global_load_dwordx2 v[55:56], v40, s[8:9]
	v_sub_u16_e32 v38, v33, v38
	v_lshlrev_b32_sdwa v66, v37, v38 dst_sel:DWORD dst_unused:UNUSED_PAD src0_sel:DWORD src1_sel:BYTE_0
	global_load_dwordx2 v[53:54], v66, s[8:9]
	s_movk_i32 s4, 0xb0
	s_waitcnt lgkmcnt(0)
	; wave barrier
	s_waitcnt vmcnt(5) lgkmcnt(0)
	v_mul_f32_e32 v37, v13, v1
	v_mul_f32_e32 v13, v13, v0
	v_fmac_f32_e32 v37, v12, v0
	v_fma_f32 v0, v12, v1, -v13
	v_sub_f32_e32 v12, v8, v37
	v_sub_f32_e32 v13, v9, v0
	v_fma_f32 v37, v8, 2.0, -v12
	s_waitcnt vmcnt(4)
	v_mul_f32_e32 v0, v27, v3
	v_mul_f32_e32 v1, v27, v2
	s_waitcnt vmcnt(3)
	v_mul_f32_e32 v27, v50, v5
	v_mul_f32_e32 v8, v50, v4
	s_waitcnt vmcnt(2)
	v_mul_f32_e32 v50, v52, v7
	v_fma_f32 v38, v9, 2.0, -v13
	v_mul_f32_e32 v9, v52, v6
	v_fmac_f32_e32 v50, v51, v6
	v_mad_u32_u24 v6, v57, s4, 0
	v_fmac_f32_e32 v0, v26, v2
	v_fma_f32 v1, v26, v3, -v1
	v_add3_u32 v6, v6, v58, v35
	v_fma_f32 v2, v49, v5, -v8
	v_fma_f32 v3, v51, v7, -v9
	v_sub_f32_e32 v8, v14, v0
	v_sub_f32_e32 v9, v15, v1
	ds_write2_b64 v6, v[37:38], v[12:13] offset1:11
	v_mad_u32_u24 v6, v59, s4, 0
	s_waitcnt vmcnt(1)
	v_mul_f32_e32 v67, v25, v56
	v_mul_f32_e32 v56, v24, v56
	v_fmac_f32_e32 v27, v49, v4
	v_fma_f32 v14, v14, 2.0, -v8
	v_fma_f32 v15, v15, 2.0, -v9
	v_add3_u32 v6, v6, v60, v35
	v_fmac_f32_e32 v67, v24, v55
	v_fma_f32 v5, v25, v55, -v56
	v_sub_f32_e32 v24, v10, v27
	v_sub_f32_e32 v25, v11, v2
	ds_write2_b64 v6, v[14:15], v[8:9] offset1:11
	v_mad_u32_u24 v6, v61, s4, 0
	v_fma_f32 v10, v10, 2.0, -v24
	v_fma_f32 v11, v11, 2.0, -v25
	v_add3_u32 v6, v6, v64, v35
	s_waitcnt vmcnt(0)
	v_mul_f32_e32 v52, v54, v23
	v_mul_f32_e32 v54, v54, v22
	v_sub_f32_e32 v0, v16, v50
	v_sub_f32_e32 v1, v17, v3
	ds_write2_b64 v6, v[10:11], v[24:25] offset1:11
	v_mad_u32_u24 v6, v62, s4, 0
	v_fmac_f32_e32 v52, v53, v22
	v_fma_f32 v4, v53, v23, -v54
	v_fma_f32 v26, v16, 2.0, -v0
	v_fma_f32 v27, v17, 2.0, -v1
	v_add3_u32 v6, v6, v65, v35
	v_sub_f32_e32 v16, v20, v52
	v_sub_f32_e32 v17, v21, v4
	;; [unrolled: 1-line block ×4, first 2 shown]
	ds_write2_b64 v6, v[26:27], v[0:1] offset1:11
	v_mad_u32_u24 v6, v63, s4, 0
	v_fma_f32 v2, v20, 2.0, -v16
	v_fma_f32 v3, v21, 2.0, -v17
	;; [unrolled: 1-line block ×4, first 2 shown]
	v_add3_u32 v6, v6, v66, v35
	ds_write2_b64 v6, v[2:3], v[16:17] offset1:11
	s_and_saveexec_b64 s[2:3], s[0:1]
	s_cbranch_execz .LBB0_17
; %bb.16:
	v_mad_u32_u24 v6, v39, s4, 0
	v_add3_u32 v6, v6, v40, v35
	ds_write2_b64 v6, v[18:19], v[4:5] offset1:11
.LBB0_17:
	s_or_b64 exec, exec, s[2:3]
	v_cmp_gt_u32_e64 s[0:1], 22, v41
	s_waitcnt lgkmcnt(0)
	; wave barrier
	s_waitcnt lgkmcnt(0)
                                        ; implicit-def: $vgpr21
                                        ; implicit-def: $vgpr40
	s_and_saveexec_b64 s[2:3], s[0:1]
	s_cbranch_execz .LBB0_19
; %bb.18:
	ds_read2_b64 v[12:15], v31 offset0:22 offset1:44
	ds_read2_b64 v[8:11], v31 offset0:66 offset1:88
	ds_read2_b64 v[24:27], v31 offset0:110 offset1:132
	ds_read2_b64 v[0:3], v31 offset0:154 offset1:176
	ds_read2_b64 v[16:19], v31 offset0:198 offset1:220
	v_add_u32_e32 v4, 0x400, v31
	v_add_u32_e32 v20, 0x800, v31
	ds_read2_b64 v[4:7], v4 offset0:114 offset1:136
	ds_read2_b64 v[20:23], v20 offset0:30 offset1:52
	ds_read_b64 v[37:38], v43
	ds_read_b64 v[39:40], v31 offset:2640
.LBB0_19:
	s_or_b64 exec, exec, s[2:3]
	s_waitcnt lgkmcnt(0)
	; wave barrier
	s_waitcnt lgkmcnt(0)
	s_and_saveexec_b64 s[2:3], s[0:1]
	s_cbranch_execz .LBB0_21
; %bb.20:
	v_subrev_u32_e32 v35, 22, v41
	v_cndmask_b32_e64 v35, v35, v41, s[0:1]
	v_mul_i32_i24_e32 v49, 15, v35
	v_mov_b32_e32 v50, 0
	v_lshlrev_b64 v[49:50], 3, v[49:50]
	v_mov_b32_e32 v35, s9
	v_add_co_u32_e64 v61, s[0:1], s8, v49
	v_addc_co_u32_e64 v62, s[0:1], v35, v50, s[0:1]
	global_load_dwordx4 v[49:52], v[61:62], off offset:120
	global_load_dwordx4 v[53:56], v[61:62], off offset:184
	;; [unrolled: 1-line block ×3, first 2 shown]
	s_waitcnt vmcnt(2)
	v_mul_f32_e32 v35, v27, v52
	v_mul_f32_e32 v52, v26, v52
	;; [unrolled: 1-line block ×4, first 2 shown]
	v_fmac_f32_e32 v35, v26, v51
	v_fma_f32 v51, v27, v51, -v52
	v_fmac_f32_e32 v63, v24, v49
	v_fma_f32 v49, v25, v49, -v50
	global_load_dwordx4 v[24:27], v[61:62], off offset:152
	s_waitcnt vmcnt(2)
	v_mul_f32_e32 v50, v23, v56
	v_mul_f32_e32 v52, v22, v56
	;; [unrolled: 1-line block ×4, first 2 shown]
	v_fmac_f32_e32 v50, v22, v55
	v_fma_f32 v52, v23, v55, -v52
	v_fmac_f32_e32 v56, v20, v53
	v_fma_f32 v53, v21, v53, -v54
	s_waitcnt vmcnt(1)
	v_mul_f32_e32 v54, v14, v60
	v_mul_f32_e32 v55, v15, v60
	;; [unrolled: 1-line block ×4, first 2 shown]
	global_load_dwordx4 v[20:23], v[61:62], off offset:136
	v_fma_f32 v54, v15, v59, -v54
	v_fmac_f32_e32 v55, v14, v59
	v_fma_f32 v59, v13, v57, -v60
	v_fmac_f32_e32 v58, v12, v57
	global_load_dwordx4 v[12:15], v[61:62], off offset:104
	s_waitcnt vmcnt(2)
	v_mul_f32_e32 v57, v18, v27
	v_mul_f32_e32 v27, v19, v27
	;; [unrolled: 1-line block ×4, first 2 shown]
	v_fma_f32 v57, v19, v26, -v57
	v_fmac_f32_e32 v27, v18, v26
	v_fma_f32 v26, v17, v24, -v60
	v_fmac_f32_e32 v64, v16, v24
	global_load_dwordx4 v[16:19], v[61:62], off offset:168
	global_load_dwordx2 v[24:25], v[61:62], off offset:200
	s_waitcnt vmcnt(2)
	v_mul_f32_e32 v60, v11, v15
	v_mul_f32_e32 v61, v8, v13
	;; [unrolled: 1-line block ×4, first 2 shown]
	v_fmac_f32_e32 v60, v10, v14
	v_fma_f32 v9, v9, v12, -v61
	v_fmac_f32_e32 v13, v8, v12
	v_fma_f32 v8, v11, v14, -v15
	v_mul_f32_e32 v14, v1, v21
	v_mul_f32_e32 v10, v2, v23
	;; [unrolled: 1-line block ×3, first 2 shown]
	v_fmac_f32_e32 v14, v0, v20
	v_fma_f32 v10, v3, v22, -v10
	v_mul_f32_e32 v23, v3, v23
	v_sub_f32_e32 v10, v38, v10
	v_fmac_f32_e32 v23, v2, v22
	v_sub_f32_e32 v23, v37, v23
	v_fma_f32 v38, v38, 2.0, -v10
	v_fma_f32 v37, v37, 2.0, -v23
	s_waitcnt vmcnt(1)
	v_mul_f32_e32 v11, v7, v19
	v_mul_f32_e32 v12, v4, v17
	s_waitcnt vmcnt(0)
	v_mul_f32_e32 v15, v40, v25
	v_mul_f32_e32 v17, v5, v17
	;; [unrolled: 1-line block ×3, first 2 shown]
	v_fmac_f32_e32 v15, v39, v24
	v_fmac_f32_e32 v11, v6, v18
	v_fma_f32 v5, v5, v16, -v12
	v_fmac_f32_e32 v17, v4, v16
	v_fma_f32 v0, v7, v18, -v19
	v_sub_f32_e32 v12, v54, v57
	v_sub_f32_e32 v4, v35, v50
	;; [unrolled: 1-line block ×3, first 2 shown]
	v_mul_f32_e32 v25, v39, v25
	v_fma_f32 v6, v1, v20, -v21
	v_sub_f32_e32 v16, v51, v52
	v_sub_f32_e32 v19, v9, v5
	;; [unrolled: 1-line block ×6, first 2 shown]
	v_fma_f32 v55, v55, 2.0, -v18
	v_fma_f32 v4, v35, 2.0, -v4
	v_fma_f32 v24, v40, v24, -v25
	v_sub_f32_e32 v11, v60, v11
	v_sub_f32_e32 v17, v13, v17
	;; [unrolled: 1-line block ×3, first 2 shown]
	v_fma_f32 v59, v59, 2.0, -v15
	v_fma_f32 v4, v49, 2.0, -v52
	v_sub_f32_e32 v7, v63, v56
	v_sub_f32_e32 v20, v6, v24
	;; [unrolled: 1-line block ×6, first 2 shown]
	v_fma_f32 v13, v13, 2.0, -v17
	v_fma_f32 v4, v14, 2.0, -v5
	v_sub_f32_e32 v27, v15, v7
	v_mov_b32_e32 v39, v24
	v_add_f32_e32 v22, v53, v52
	v_add_f32_e32 v61, v23, v57
	v_sub_f32_e32 v14, v13, v4
	v_fma_f32 v65, v9, 2.0, -v19
	v_fma_f32 v4, v6, 2.0, -v20
	v_add_f32_e32 v25, v18, v16
	v_sub_f32_e32 v26, v19, v5
	v_mov_b32_e32 v40, v27
	v_fmac_f32_e32 v39, 0x3f3504f3, v21
	v_add_f32_e32 v50, v17, v20
	v_mov_b32_e32 v56, v22
	v_mov_b32_e32 v62, v61
	v_sub_f32_e32 v20, v65, v4
	v_fma_f32 v58, v58, 2.0, -v53
	v_fma_f32 v4, v63, 2.0, -v7
	v_fmac_f32_e32 v40, 0x3f3504f3, v26
	v_fmac_f32_e32 v39, 0xbf3504f3, v25
	;; [unrolled: 1-line block ×4, first 2 shown]
	v_fma_f32 v8, v8, 2.0, -v57
	v_sub_f32_e32 v63, v58, v4
	v_fma_f32 v54, v54, 2.0, -v12
	v_fma_f32 v4, v51, 2.0, -v16
	;; [unrolled: 1-line block ×5, first 2 shown]
	v_fmac_f32_e32 v40, 0xbf3504f3, v50
	v_fmac_f32_e32 v56, 0x3f3504f3, v26
	v_sub_f32_e32 v57, v38, v8
	v_sub_f32_e32 v16, v54, v4
	v_fma_f32 v4, v60, 2.0, -v11
	v_fma_f32 v8, v12, 2.0, -v21
	;; [unrolled: 1-line block ×3, first 2 shown]
	v_mov_b32_e32 v26, v25
	v_fma_f32 v12, v17, 2.0, -v50
	v_fma_f32 v50, v53, 2.0, -v22
	v_fmac_f32_e32 v26, 0xbf3504f3, v11
	v_mov_b32_e32 v53, v50
	v_sub_f32_e32 v51, v37, v4
	v_fmac_f32_e32 v26, 0xbf3504f3, v12
	v_fmac_f32_e32 v53, 0xbf3504f3, v12
	v_fma_f32 v38, v38, 2.0, -v57
	v_fma_f32 v12, v54, 2.0, -v16
	v_add_f32_e32 v60, v51, v16
	v_sub_f32_e32 v54, v38, v12
	v_fma_f32 v58, v58, 2.0, -v63
	v_fma_f32 v12, v13, 2.0, -v14
	;; [unrolled: 1-line block ×3, first 2 shown]
	v_sub_f32_e32 v71, v58, v12
	v_fma_f32 v37, v37, 2.0, -v51
	v_fma_f32 v12, v55, 2.0, -v35
	;; [unrolled: 1-line block ×3, first 2 shown]
	v_mov_b32_e32 v17, v16
	v_fmac_f32_e32 v62, 0x3f3504f3, v21
	v_sub_f32_e32 v64, v57, v35
	v_add_f32_e32 v66, v63, v20
	v_sub_f32_e32 v35, v37, v12
	v_fma_f32 v12, v65, 2.0, -v20
	v_fmac_f32_e32 v17, 0xbec3ef15, v18
	v_fma_f32 v20, v22, 2.0, -v56
	v_fmac_f32_e32 v17, 0xbf6c835e, v20
	v_fma_f32 v21, v61, 2.0, -v62
	v_fma_f32 v19, v16, 2.0, -v17
	v_mov_b32_e32 v16, v21
	v_fmac_f32_e32 v16, 0xbec3ef15, v20
	v_sub_f32_e32 v52, v49, v14
	v_fma_f32 v69, v23, 2.0, -v61
	v_fmac_f32_e32 v16, 0x3f6c835e, v18
	v_fma_f32 v20, v57, 2.0, -v64
	v_mov_b32_e32 v70, v69
	v_fma_f32 v18, v21, 2.0, -v16
	v_fma_f32 v22, v49, 2.0, -v52
	v_mov_b32_e32 v21, v20
	v_mov_b32_e32 v68, v67
	v_fmac_f32_e32 v70, 0xbf3504f3, v10
	v_fmac_f32_e32 v21, 0xbf3504f3, v22
	v_fma_f32 v24, v63, 2.0, -v66
	v_fmac_f32_e32 v68, 0xbf3504f3, v8
	v_fmac_f32_e32 v70, 0x3f3504f3, v8
	;; [unrolled: 1-line block ×3, first 2 shown]
	v_fma_f32 v27, v51, 2.0, -v60
	v_mov_b32_e32 v1, v39
	v_fmac_f32_e32 v68, 0xbf3504f3, v10
	v_fmac_f32_e32 v53, 0x3f3504f3, v11
	v_mov_b32_e32 v8, v70
	v_fma_f32 v23, v20, 2.0, -v21
	v_mov_b32_e32 v20, v27
	v_fmac_f32_e32 v1, 0x3f6c835e, v40
	v_mov_b32_e32 v9, v68
	v_fmac_f32_e32 v8, 0x3ec3ef15, v53
	v_fmac_f32_e32 v20, 0xbf3504f3, v24
	v_fma_f32 v24, v67, 2.0, -v68
	v_fmac_f32_e32 v1, 0xbec3ef15, v56
	v_mov_b32_e32 v0, v62
	v_fmac_f32_e32 v9, 0x3ec3ef15, v26
	v_fmac_f32_e32 v8, 0x3f6c835e, v26
	v_fma_f32 v26, v25, 2.0, -v26
	v_mov_b32_e32 v25, v24
	v_fma_f32 v3, v39, 2.0, -v1
	v_fmac_f32_e32 v0, 0x3f6c835e, v56
	v_fma_f32 v55, v59, 2.0, -v49
	v_fmac_f32_e32 v25, 0xbf6c835e, v26
	;; [unrolled: 2-line block ×3, first 2 shown]
	v_sub_f32_e32 v59, v55, v12
	v_fmac_f32_e32 v20, 0x3f3504f3, v22
	v_fmac_f32_e32 v25, 0xbec3ef15, v39
	v_fma_f32 v40, v69, 2.0, -v70
	v_add_f32_e32 v12, v35, v59
	v_fma_f32 v22, v27, 2.0, -v20
	v_fma_f32 v27, v24, 2.0, -v25
	v_mov_b32_e32 v24, v40
	v_mov_b32_e32 v5, v64
	;; [unrolled: 1-line block ×3, first 2 shown]
	v_fma_f32 v14, v35, 2.0, -v12
	v_fmac_f32_e32 v24, 0xbf6c835e, v39
	v_fma_f32 v39, v38, 2.0, -v54
	v_fma_f32 v38, v55, 2.0, -v59
	v_fma_f32 v35, v37, 2.0, -v35
	v_fma_f32 v37, v58, 2.0, -v71
	v_fmac_f32_e32 v5, 0x3f3504f3, v52
	v_fmac_f32_e32 v4, 0x3f3504f3, v66
	;; [unrolled: 1-line block ×3, first 2 shown]
	v_sub_f32_e32 v38, v39, v38
	v_sub_f32_e32 v37, v35, v37
	v_fma_f32 v2, v62, 2.0, -v0
	v_fmac_f32_e32 v5, 0xbf3504f3, v66
	v_fmac_f32_e32 v4, 0x3f3504f3, v52
	;; [unrolled: 1-line block ×3, first 2 shown]
	v_sub_f32_e32 v13, v54, v71
	v_fma_f32 v26, v40, 2.0, -v24
	v_fma_f32 v40, v39, 2.0, -v38
	;; [unrolled: 1-line block ×8, first 2 shown]
	ds_write_b64 v43, v[39:40]
	ds_write2_b64 v31, v[26:27], v[22:23] offset0:22 offset1:44
	ds_write2_b64 v31, v[18:19], v[14:15] offset0:66 offset1:88
	;; [unrolled: 1-line block ×5, first 2 shown]
	v_add_u32_e32 v2, 0x400, v31
	ds_write2_b64 v2, v[16:17], v[12:13] offset0:114 offset1:136
	v_add_u32_e32 v2, 0x800, v31
	ds_write2_b64 v2, v[8:9], v[4:5] offset0:30 offset1:52
	ds_write_b64 v31, v[0:1] offset:2640
.LBB0_21:
	s_or_b64 exec, exec, s[2:3]
	s_waitcnt lgkmcnt(0)
	; wave barrier
	s_waitcnt lgkmcnt(0)
	ds_read_b64 v[2:3], v43
	v_sub_u32_e32 v4, v44, v42
	v_cmp_ne_u32_e64 s[0:1], 0, v41
                                        ; implicit-def: $vgpr1
                                        ; implicit-def: $vgpr5
	s_and_saveexec_b64 s[2:3], s[0:1]
	s_xor_b64 s[0:1], exec, s[2:3]
	s_cbranch_execz .LBB0_23
; %bb.22:
	global_load_dwordx2 v[6:7], v42, s[8:9] offset:2728
	ds_read_b64 v[0:1], v4 offset:2816
	s_waitcnt lgkmcnt(0)
	v_add_f32_e32 v8, v0, v2
	v_sub_f32_e32 v0, v2, v0
	v_add_f32_e32 v5, v1, v3
	v_sub_f32_e32 v1, v3, v1
	v_mul_f32_e32 v3, 0.5, v0
	v_mul_f32_e32 v0, 0.5, v1
	;; [unrolled: 1-line block ×3, first 2 shown]
	s_waitcnt vmcnt(0)
	v_mul_f32_e32 v1, v7, v3
	v_fma_f32 v9, 0.5, v8, v1
	v_fma_f32 v5, v2, v7, v0
	v_fma_f32 v7, v2, v7, -v0
	v_fma_f32 v0, v8, 0.5, -v1
	v_fmac_f32_e32 v9, v6, v2
	v_fma_f32 v5, -v6, v3, v5
	v_fma_f32 v0, -v6, v2, v0
	ds_write_b32 v43, v9
	v_fma_f32 v1, -v6, v3, v7
                                        ; implicit-def: $vgpr2_vgpr3
.LBB0_23:
	s_andn2_saveexec_b64 s[0:1], s[0:1]
	s_cbranch_execz .LBB0_25
; %bb.24:
	ds_read_b32 v1, v44 offset:1412
	v_mov_b32_e32 v5, 0
	s_waitcnt lgkmcnt(1)
	v_add_f32_e32 v6, v2, v3
	v_sub_f32_e32 v0, v2, v3
	ds_write_b32 v43, v6
	s_waitcnt lgkmcnt(1)
	v_xor_b32_e32 v1, 0x80000000, v1
	ds_write_b32 v44, v1 offset:1412
	v_mov_b32_e32 v1, v5
.LBB0_25:
	s_or_b64 exec, exec, s[0:1]
	v_mov_b32_e32 v31, 0
	s_waitcnt lgkmcnt(0)
	v_lshlrev_b64 v[2:3], 3, v[30:31]
	v_mov_b32_e32 v14, s9
	v_add_co_u32_e64 v2, s[0:1], s8, v2
	v_addc_co_u32_e64 v3, s[0:1], v14, v3, s[0:1]
	global_load_dwordx2 v[2:3], v[2:3], off offset:2728
	v_mov_b32_e32 v35, v31
	v_lshlrev_b64 v[6:7], 3, v[34:35]
	v_mov_b32_e32 v37, v31
	v_add_co_u32_e64 v6, s[0:1], s8, v6
	v_addc_co_u32_e64 v7, s[0:1], v14, v7, s[0:1]
	global_load_dwordx2 v[6:7], v[6:7], off offset:2728
	v_lshlrev_b64 v[8:9], 3, v[36:37]
	v_mov_b32_e32 v34, v31
	v_add_co_u32_e64 v8, s[0:1], s8, v8
	v_addc_co_u32_e64 v9, s[0:1], v14, v9, s[0:1]
	global_load_dwordx2 v[8:9], v[8:9], off offset:2728
	v_lshlrev_b64 v[12:13], 3, v[33:34]
	ds_write_b32 v43, v5 offset:4
	ds_write_b64 v4, v[0:1] offset:2816
	v_add_co_u32_e64 v12, s[0:1], s8, v12
	v_addc_co_u32_e64 v13, s[0:1], v14, v13, s[0:1]
	ds_read_b64 v[0:1], v48
	ds_read_b64 v[10:11], v4 offset:2560
	global_load_dwordx2 v[12:13], v[12:13], off offset:2728
	s_movk_i32 s0, 0xb0
	v_cmp_gt_u32_e64 s[0:1], s0, v32
	s_waitcnt lgkmcnt(0)
	v_add_f32_e32 v5, v0, v10
	v_sub_f32_e32 v0, v0, v10
	v_add_f32_e32 v14, v1, v11
	v_sub_f32_e32 v1, v1, v11
	v_mul_f32_e32 v11, 0.5, v0
	v_mul_f32_e32 v10, 0.5, v14
	v_mul_f32_e32 v0, 0.5, v1
	s_waitcnt vmcnt(3)
	v_mul_f32_e32 v14, v3, v11
	v_fma_f32 v1, v10, v3, v0
	v_fma_f32 v3, v10, v3, -v0
	v_fma_f32 v0, 0.5, v5, v14
	v_fma_f32 v1, -v2, v11, v1
	v_fma_f32 v5, v5, 0.5, -v14
	v_fmac_f32_e32 v0, v2, v10
	v_fma_f32 v3, -v2, v11, v3
	v_fma_f32 v2, -v2, v10, v5
	ds_write_b64 v48, v[0:1]
	ds_write_b64 v4, v[2:3] offset:2560
	ds_read_b64 v[0:1], v47
	ds_read_b64 v[2:3], v4 offset:2304
	s_waitcnt lgkmcnt(0)
	v_add_f32_e32 v5, v0, v2
	v_sub_f32_e32 v0, v0, v2
	v_add_f32_e32 v10, v1, v3
	v_sub_f32_e32 v1, v1, v3
	v_mul_f32_e32 v3, 0.5, v0
	v_mul_f32_e32 v2, 0.5, v10
	v_mul_f32_e32 v0, 0.5, v1
	s_waitcnt vmcnt(2)
	v_mul_f32_e32 v10, v7, v3
	v_fma_f32 v1, v2, v7, v0
	v_fma_f32 v7, v2, v7, -v0
	v_fma_f32 v0, 0.5, v5, v10
	v_fma_f32 v1, -v6, v3, v1
	v_fma_f32 v5, v5, 0.5, -v10
	v_fmac_f32_e32 v0, v6, v2
	v_fma_f32 v3, -v6, v3, v7
	v_fma_f32 v2, -v6, v2, v5
	ds_write_b64 v47, v[0:1]
	ds_write_b64 v4, v[2:3] offset:2304
	ds_read_b64 v[0:1], v46
	ds_read_b64 v[2:3], v4 offset:2048
	;; [unrolled: 22-line block ×3, first 2 shown]
	s_waitcnt lgkmcnt(0)
	v_add_f32_e32 v5, v0, v2
	v_sub_f32_e32 v0, v0, v2
	v_add_f32_e32 v6, v1, v3
	v_sub_f32_e32 v1, v1, v3
	v_mul_f32_e32 v3, 0.5, v0
	v_mul_f32_e32 v2, 0.5, v6
	;; [unrolled: 1-line block ×3, first 2 shown]
	s_waitcnt vmcnt(0)
	v_mul_f32_e32 v6, v13, v3
	v_fma_f32 v1, v2, v13, v0
	v_fma_f32 v7, v2, v13, -v0
	v_fma_f32 v0, 0.5, v5, v6
	v_fma_f32 v1, -v12, v3, v1
	v_fma_f32 v5, v5, 0.5, -v6
	v_fmac_f32_e32 v0, v12, v2
	v_fma_f32 v3, -v12, v3, v7
	v_fma_f32 v2, -v12, v2, v5
	ds_write_b64 v45, v[0:1]
	ds_write_b64 v4, v[2:3] offset:1792
	s_and_saveexec_b64 s[2:3], s[0:1]
	s_cbranch_execz .LBB0_27
; %bb.26:
	v_mov_b32_e32 v33, v31
	v_lshlrev_b64 v[0:1], 3, v[32:33]
	v_mov_b32_e32 v2, s9
	v_add_co_u32_e64 v0, s[0:1], s8, v0
	v_addc_co_u32_e64 v1, s[0:1], v2, v1, s[0:1]
	global_load_dwordx2 v[0:1], v[0:1], off offset:2728
	v_lshl_add_u32 v7, v32, 3, v44
	ds_read_b64 v[2:3], v7
	ds_read_b64 v[5:6], v4 offset:1536
	s_waitcnt lgkmcnt(0)
	v_add_f32_e32 v8, v2, v5
	v_sub_f32_e32 v2, v2, v5
	v_add_f32_e32 v9, v3, v6
	v_sub_f32_e32 v3, v3, v6
	v_mul_f32_e32 v6, 0.5, v2
	v_mul_f32_e32 v5, 0.5, v9
	;; [unrolled: 1-line block ×3, first 2 shown]
	s_waitcnt vmcnt(0)
	v_mul_f32_e32 v3, v1, v6
	v_fma_f32 v9, v5, v1, v2
	v_fma_f32 v10, v5, v1, -v2
	v_fma_f32 v1, 0.5, v8, v3
	v_fma_f32 v2, -v0, v6, v9
	v_fma_f32 v3, v8, 0.5, -v3
	v_fmac_f32_e32 v1, v0, v5
	v_fma_f32 v6, -v0, v6, v10
	v_fma_f32 v5, -v0, v5, v3
	ds_write_b64 v7, v[1:2]
	ds_write_b64 v4, v[5:6] offset:1536
.LBB0_27:
	s_or_b64 exec, exec, s[2:3]
	s_waitcnt lgkmcnt(0)
	; wave barrier
	s_waitcnt lgkmcnt(0)
	s_and_saveexec_b64 s[0:1], vcc
	s_cbranch_execz .LBB0_30
; %bb.28:
	ds_read2_b64 v[2:5], v43 offset1:32
	v_mov_b32_e32 v1, s13
	v_add_co_u32_e32 v0, vcc, s12, v28
	v_addc_co_u32_e32 v1, vcc, v1, v29, vcc
	ds_read2_b64 v[6:9], v43 offset0:64 offset1:96
	v_add_co_u32_e32 v14, vcc, v0, v42
	v_addc_co_u32_e32 v15, vcc, 0, v1, vcc
	ds_read2_b64 v[10:13], v43 offset0:128 offset1:160
	s_waitcnt lgkmcnt(2)
	global_store_dwordx2 v[14:15], v[2:3], off
	global_store_dwordx2 v[14:15], v[4:5], off offset:256
	s_waitcnt lgkmcnt(1)
	global_store_dwordx2 v[14:15], v[6:7], off offset:512
	global_store_dwordx2 v[14:15], v[8:9], off offset:768
	s_waitcnt lgkmcnt(0)
	global_store_dwordx2 v[14:15], v[10:11], off offset:1024
	ds_read2_b64 v[2:5], v43 offset0:192 offset1:224
	v_add_u32_e32 v6, 0x800, v43
	ds_read2_b64 v[6:9], v6 offset1:32
	ds_read_b64 v[10:11], v43 offset:2560
	v_cmp_eq_u32_e32 vcc, 31, v41
	global_store_dwordx2 v[14:15], v[12:13], off offset:1280
	s_waitcnt lgkmcnt(2)
	global_store_dwordx2 v[14:15], v[2:3], off offset:1536
	global_store_dwordx2 v[14:15], v[4:5], off offset:1792
	s_waitcnt lgkmcnt(1)
	global_store_dwordx2 v[14:15], v[6:7], off offset:2048
	;; [unrolled: 3-line block ×3, first 2 shown]
	s_and_b64 exec, exec, vcc
	s_cbranch_execz .LBB0_30
; %bb.29:
	ds_read_b64 v[2:3], v43 offset:2568
	s_waitcnt lgkmcnt(0)
	global_store_dwordx2 v[0:1], v[2:3], off offset:2816
.LBB0_30:
	s_endpgm
	.section	.rodata,"a",@progbits
	.p2align	6, 0x0
	.amdhsa_kernel fft_rtc_back_len352_factors_11_2_16_wgs_64_tpt_32_sp_ip_CI_unitstride_sbrr_R2C_dirReg
		.amdhsa_group_segment_fixed_size 0
		.amdhsa_private_segment_fixed_size 0
		.amdhsa_kernarg_size 88
		.amdhsa_user_sgpr_count 6
		.amdhsa_user_sgpr_private_segment_buffer 1
		.amdhsa_user_sgpr_dispatch_ptr 0
		.amdhsa_user_sgpr_queue_ptr 0
		.amdhsa_user_sgpr_kernarg_segment_ptr 1
		.amdhsa_user_sgpr_dispatch_id 0
		.amdhsa_user_sgpr_flat_scratch_init 0
		.amdhsa_user_sgpr_private_segment_size 0
		.amdhsa_uses_dynamic_stack 0
		.amdhsa_system_sgpr_private_segment_wavefront_offset 0
		.amdhsa_system_sgpr_workgroup_id_x 1
		.amdhsa_system_sgpr_workgroup_id_y 0
		.amdhsa_system_sgpr_workgroup_id_z 0
		.amdhsa_system_sgpr_workgroup_info 0
		.amdhsa_system_vgpr_workitem_id 0
		.amdhsa_next_free_vgpr 72
		.amdhsa_next_free_sgpr 22
		.amdhsa_reserve_vcc 1
		.amdhsa_reserve_flat_scratch 0
		.amdhsa_float_round_mode_32 0
		.amdhsa_float_round_mode_16_64 0
		.amdhsa_float_denorm_mode_32 3
		.amdhsa_float_denorm_mode_16_64 3
		.amdhsa_dx10_clamp 1
		.amdhsa_ieee_mode 1
		.amdhsa_fp16_overflow 0
		.amdhsa_exception_fp_ieee_invalid_op 0
		.amdhsa_exception_fp_denorm_src 0
		.amdhsa_exception_fp_ieee_div_zero 0
		.amdhsa_exception_fp_ieee_overflow 0
		.amdhsa_exception_fp_ieee_underflow 0
		.amdhsa_exception_fp_ieee_inexact 0
		.amdhsa_exception_int_div_zero 0
	.end_amdhsa_kernel
	.text
.Lfunc_end0:
	.size	fft_rtc_back_len352_factors_11_2_16_wgs_64_tpt_32_sp_ip_CI_unitstride_sbrr_R2C_dirReg, .Lfunc_end0-fft_rtc_back_len352_factors_11_2_16_wgs_64_tpt_32_sp_ip_CI_unitstride_sbrr_R2C_dirReg
                                        ; -- End function
	.section	.AMDGPU.csdata,"",@progbits
; Kernel info:
; codeLenInByte = 7688
; NumSgprs: 26
; NumVgprs: 72
; ScratchSize: 0
; MemoryBound: 0
; FloatMode: 240
; IeeeMode: 1
; LDSByteSize: 0 bytes/workgroup (compile time only)
; SGPRBlocks: 3
; VGPRBlocks: 17
; NumSGPRsForWavesPerEU: 26
; NumVGPRsForWavesPerEU: 72
; Occupancy: 3
; WaveLimiterHint : 1
; COMPUTE_PGM_RSRC2:SCRATCH_EN: 0
; COMPUTE_PGM_RSRC2:USER_SGPR: 6
; COMPUTE_PGM_RSRC2:TRAP_HANDLER: 0
; COMPUTE_PGM_RSRC2:TGID_X_EN: 1
; COMPUTE_PGM_RSRC2:TGID_Y_EN: 0
; COMPUTE_PGM_RSRC2:TGID_Z_EN: 0
; COMPUTE_PGM_RSRC2:TIDIG_COMP_CNT: 0
	.type	__hip_cuid_bdcc9c4e62f47db3,@object ; @__hip_cuid_bdcc9c4e62f47db3
	.section	.bss,"aw",@nobits
	.globl	__hip_cuid_bdcc9c4e62f47db3
__hip_cuid_bdcc9c4e62f47db3:
	.byte	0                               ; 0x0
	.size	__hip_cuid_bdcc9c4e62f47db3, 1

	.ident	"AMD clang version 19.0.0git (https://github.com/RadeonOpenCompute/llvm-project roc-6.4.0 25133 c7fe45cf4b819c5991fe208aaa96edf142730f1d)"
	.section	".note.GNU-stack","",@progbits
	.addrsig
	.addrsig_sym __hip_cuid_bdcc9c4e62f47db3
	.amdgpu_metadata
---
amdhsa.kernels:
  - .args:
      - .actual_access:  read_only
        .address_space:  global
        .offset:         0
        .size:           8
        .value_kind:     global_buffer
      - .offset:         8
        .size:           8
        .value_kind:     by_value
      - .actual_access:  read_only
        .address_space:  global
        .offset:         16
        .size:           8
        .value_kind:     global_buffer
      - .actual_access:  read_only
        .address_space:  global
        .offset:         24
        .size:           8
        .value_kind:     global_buffer
      - .offset:         32
        .size:           8
        .value_kind:     by_value
      - .actual_access:  read_only
        .address_space:  global
        .offset:         40
        .size:           8
        .value_kind:     global_buffer
      - .actual_access:  read_only
        .address_space:  global
        .offset:         48
        .size:           8
        .value_kind:     global_buffer
      - .offset:         56
        .size:           4
        .value_kind:     by_value
      - .actual_access:  read_only
        .address_space:  global
        .offset:         64
        .size:           8
        .value_kind:     global_buffer
      - .actual_access:  read_only
        .address_space:  global
        .offset:         72
        .size:           8
        .value_kind:     global_buffer
      - .address_space:  global
        .offset:         80
        .size:           8
        .value_kind:     global_buffer
    .group_segment_fixed_size: 0
    .kernarg_segment_align: 8
    .kernarg_segment_size: 88
    .language:       OpenCL C
    .language_version:
      - 2
      - 0
    .max_flat_workgroup_size: 64
    .name:           fft_rtc_back_len352_factors_11_2_16_wgs_64_tpt_32_sp_ip_CI_unitstride_sbrr_R2C_dirReg
    .private_segment_fixed_size: 0
    .sgpr_count:     26
    .sgpr_spill_count: 0
    .symbol:         fft_rtc_back_len352_factors_11_2_16_wgs_64_tpt_32_sp_ip_CI_unitstride_sbrr_R2C_dirReg.kd
    .uniform_work_group_size: 1
    .uses_dynamic_stack: false
    .vgpr_count:     72
    .vgpr_spill_count: 0
    .wavefront_size: 64
amdhsa.target:   amdgcn-amd-amdhsa--gfx906
amdhsa.version:
  - 1
  - 2
...

	.end_amdgpu_metadata
